;; amdgpu-corpus repo=ROCm/rocFFT kind=compiled arch=gfx906 opt=O3
	.text
	.amdgcn_target "amdgcn-amd-amdhsa--gfx906"
	.amdhsa_code_object_version 6
	.protected	fft_rtc_back_len735_factors_7_3_5_7_wgs_147_tpt_147_sp_op_CI_CI_sbrr_dirReg ; -- Begin function fft_rtc_back_len735_factors_7_3_5_7_wgs_147_tpt_147_sp_op_CI_CI_sbrr_dirReg
	.globl	fft_rtc_back_len735_factors_7_3_5_7_wgs_147_tpt_147_sp_op_CI_CI_sbrr_dirReg
	.p2align	8
	.type	fft_rtc_back_len735_factors_7_3_5_7_wgs_147_tpt_147_sp_op_CI_CI_sbrr_dirReg,@function
fft_rtc_back_len735_factors_7_3_5_7_wgs_147_tpt_147_sp_op_CI_CI_sbrr_dirReg: ; @fft_rtc_back_len735_factors_7_3_5_7_wgs_147_tpt_147_sp_op_CI_CI_sbrr_dirReg
; %bb.0:
	s_load_dwordx4 s[16:19], s[4:5], 0x18
	s_load_dwordx4 s[12:15], s[4:5], 0x0
	;; [unrolled: 1-line block ×3, first 2 shown]
	v_mul_u32_u24_e32 v1, 0x1be, v0
	v_add_u32_sdwa v5, s6, v1 dst_sel:DWORD dst_unused:UNUSED_PAD src0_sel:DWORD src1_sel:WORD_1
	s_waitcnt lgkmcnt(0)
	s_load_dwordx2 s[20:21], s[16:17], 0x0
	s_load_dwordx2 s[2:3], s[18:19], 0x0
	v_cmp_lt_u64_e64 s[0:1], s[14:15], 2
	v_mov_b32_e32 v3, 0
	v_mov_b32_e32 v1, 0
	;; [unrolled: 1-line block ×3, first 2 shown]
	s_and_b64 vcc, exec, s[0:1]
	v_mov_b32_e32 v2, 0
	s_cbranch_vccnz .LBB0_8
; %bb.1:
	s_load_dwordx2 s[0:1], s[4:5], 0x10
	s_add_u32 s6, s18, 8
	s_addc_u32 s7, s19, 0
	s_add_u32 s22, s16, 8
	v_mov_b32_e32 v1, 0
	s_addc_u32 s23, s17, 0
	v_mov_b32_e32 v2, 0
	s_waitcnt lgkmcnt(0)
	s_add_u32 s24, s0, 8
	v_mov_b32_e32 v13, v2
	s_addc_u32 s25, s1, 0
	s_mov_b64 s[26:27], 1
	v_mov_b32_e32 v12, v1
.LBB0_2:                                ; =>This Inner Loop Header: Depth=1
	s_load_dwordx2 s[28:29], s[24:25], 0x0
                                        ; implicit-def: $vgpr14_vgpr15
	s_waitcnt lgkmcnt(0)
	v_or_b32_e32 v4, s29, v6
	v_cmp_ne_u64_e32 vcc, 0, v[3:4]
	s_and_saveexec_b64 s[0:1], vcc
	s_xor_b64 s[30:31], exec, s[0:1]
	s_cbranch_execz .LBB0_4
; %bb.3:                                ;   in Loop: Header=BB0_2 Depth=1
	v_cvt_f32_u32_e32 v4, s28
	v_cvt_f32_u32_e32 v7, s29
	s_sub_u32 s0, 0, s28
	s_subb_u32 s1, 0, s29
	v_mac_f32_e32 v4, 0x4f800000, v7
	v_rcp_f32_e32 v4, v4
	v_mul_f32_e32 v4, 0x5f7ffffc, v4
	v_mul_f32_e32 v7, 0x2f800000, v4
	v_trunc_f32_e32 v7, v7
	v_mac_f32_e32 v4, 0xcf800000, v7
	v_cvt_u32_f32_e32 v7, v7
	v_cvt_u32_f32_e32 v4, v4
	v_mul_lo_u32 v8, s0, v7
	v_mul_hi_u32 v9, s0, v4
	v_mul_lo_u32 v11, s1, v4
	v_mul_lo_u32 v10, s0, v4
	v_add_u32_e32 v8, v9, v8
	v_add_u32_e32 v8, v8, v11
	v_mul_hi_u32 v9, v4, v10
	v_mul_lo_u32 v11, v4, v8
	v_mul_hi_u32 v15, v4, v8
	v_mul_hi_u32 v14, v7, v10
	v_mul_lo_u32 v10, v7, v10
	v_mul_hi_u32 v16, v7, v8
	v_add_co_u32_e32 v9, vcc, v9, v11
	v_addc_co_u32_e32 v11, vcc, 0, v15, vcc
	v_mul_lo_u32 v8, v7, v8
	v_add_co_u32_e32 v9, vcc, v9, v10
	v_addc_co_u32_e32 v9, vcc, v11, v14, vcc
	v_addc_co_u32_e32 v10, vcc, 0, v16, vcc
	v_add_co_u32_e32 v8, vcc, v9, v8
	v_addc_co_u32_e32 v9, vcc, 0, v10, vcc
	v_add_co_u32_e32 v4, vcc, v4, v8
	v_addc_co_u32_e32 v7, vcc, v7, v9, vcc
	v_mul_lo_u32 v8, s0, v7
	v_mul_hi_u32 v9, s0, v4
	v_mul_lo_u32 v10, s1, v4
	v_mul_lo_u32 v11, s0, v4
	v_add_u32_e32 v8, v9, v8
	v_add_u32_e32 v8, v8, v10
	v_mul_lo_u32 v14, v4, v8
	v_mul_hi_u32 v15, v4, v11
	v_mul_hi_u32 v16, v4, v8
	;; [unrolled: 1-line block ×3, first 2 shown]
	v_mul_lo_u32 v11, v7, v11
	v_mul_hi_u32 v9, v7, v8
	v_add_co_u32_e32 v14, vcc, v15, v14
	v_addc_co_u32_e32 v15, vcc, 0, v16, vcc
	v_mul_lo_u32 v8, v7, v8
	v_add_co_u32_e32 v11, vcc, v14, v11
	v_addc_co_u32_e32 v10, vcc, v15, v10, vcc
	v_addc_co_u32_e32 v9, vcc, 0, v9, vcc
	v_add_co_u32_e32 v8, vcc, v10, v8
	v_addc_co_u32_e32 v9, vcc, 0, v9, vcc
	v_add_co_u32_e32 v4, vcc, v4, v8
	v_addc_co_u32_e32 v9, vcc, v7, v9, vcc
	v_mad_u64_u32 v[7:8], s[0:1], v5, v9, 0
	v_mul_hi_u32 v10, v5, v4
	v_add_co_u32_e32 v11, vcc, v10, v7
	v_addc_co_u32_e32 v14, vcc, 0, v8, vcc
	v_mad_u64_u32 v[7:8], s[0:1], v6, v4, 0
	v_mad_u64_u32 v[9:10], s[0:1], v6, v9, 0
	v_add_co_u32_e32 v4, vcc, v11, v7
	v_addc_co_u32_e32 v4, vcc, v14, v8, vcc
	v_addc_co_u32_e32 v7, vcc, 0, v10, vcc
	v_add_co_u32_e32 v4, vcc, v4, v9
	v_addc_co_u32_e32 v9, vcc, 0, v7, vcc
	v_mul_lo_u32 v10, s29, v4
	v_mul_lo_u32 v11, s28, v9
	v_mad_u64_u32 v[7:8], s[0:1], s28, v4, 0
	v_add3_u32 v8, v8, v11, v10
	v_sub_u32_e32 v10, v6, v8
	v_mov_b32_e32 v11, s29
	v_sub_co_u32_e32 v7, vcc, v5, v7
	v_subb_co_u32_e64 v10, s[0:1], v10, v11, vcc
	v_subrev_co_u32_e64 v11, s[0:1], s28, v7
	v_subbrev_co_u32_e64 v10, s[0:1], 0, v10, s[0:1]
	v_cmp_le_u32_e64 s[0:1], s29, v10
	v_cndmask_b32_e64 v14, 0, -1, s[0:1]
	v_cmp_le_u32_e64 s[0:1], s28, v11
	v_cndmask_b32_e64 v11, 0, -1, s[0:1]
	v_cmp_eq_u32_e64 s[0:1], s29, v10
	v_cndmask_b32_e64 v10, v14, v11, s[0:1]
	v_add_co_u32_e64 v11, s[0:1], 2, v4
	v_addc_co_u32_e64 v14, s[0:1], 0, v9, s[0:1]
	v_add_co_u32_e64 v16, s[0:1], 1, v4
	v_addc_co_u32_e64 v15, s[0:1], 0, v9, s[0:1]
	v_subb_co_u32_e32 v8, vcc, v6, v8, vcc
	v_cmp_ne_u32_e64 s[0:1], 0, v10
	v_cmp_le_u32_e32 vcc, s29, v8
	v_cndmask_b32_e64 v10, v15, v14, s[0:1]
	v_cndmask_b32_e64 v14, 0, -1, vcc
	v_cmp_le_u32_e32 vcc, s28, v7
	v_cndmask_b32_e64 v7, 0, -1, vcc
	v_cmp_eq_u32_e32 vcc, s29, v8
	v_cndmask_b32_e32 v7, v14, v7, vcc
	v_cmp_ne_u32_e32 vcc, 0, v7
	v_cndmask_b32_e64 v7, v16, v11, s[0:1]
	v_cndmask_b32_e32 v15, v9, v10, vcc
	v_cndmask_b32_e32 v14, v4, v7, vcc
.LBB0_4:                                ;   in Loop: Header=BB0_2 Depth=1
	s_andn2_saveexec_b64 s[0:1], s[30:31]
	s_cbranch_execz .LBB0_6
; %bb.5:                                ;   in Loop: Header=BB0_2 Depth=1
	v_cvt_f32_u32_e32 v4, s28
	s_sub_i32 s30, 0, s28
	v_mov_b32_e32 v15, v3
	v_rcp_iflag_f32_e32 v4, v4
	v_mul_f32_e32 v4, 0x4f7ffffe, v4
	v_cvt_u32_f32_e32 v4, v4
	v_mul_lo_u32 v7, s30, v4
	v_mul_hi_u32 v7, v4, v7
	v_add_u32_e32 v4, v4, v7
	v_mul_hi_u32 v4, v5, v4
	v_mul_lo_u32 v7, v4, s28
	v_add_u32_e32 v8, 1, v4
	v_sub_u32_e32 v7, v5, v7
	v_subrev_u32_e32 v9, s28, v7
	v_cmp_le_u32_e32 vcc, s28, v7
	v_cndmask_b32_e32 v7, v7, v9, vcc
	v_cndmask_b32_e32 v4, v4, v8, vcc
	v_add_u32_e32 v8, 1, v4
	v_cmp_le_u32_e32 vcc, s28, v7
	v_cndmask_b32_e32 v14, v4, v8, vcc
.LBB0_6:                                ;   in Loop: Header=BB0_2 Depth=1
	s_or_b64 exec, exec, s[0:1]
	v_mul_lo_u32 v4, v15, s28
	v_mul_lo_u32 v9, v14, s29
	v_mad_u64_u32 v[7:8], s[0:1], v14, s28, 0
	s_load_dwordx2 s[0:1], s[22:23], 0x0
	s_load_dwordx2 s[28:29], s[6:7], 0x0
	v_add3_u32 v4, v8, v9, v4
	v_sub_co_u32_e32 v5, vcc, v5, v7
	v_subb_co_u32_e32 v4, vcc, v6, v4, vcc
	s_waitcnt lgkmcnt(0)
	v_mul_lo_u32 v6, s0, v4
	v_mul_lo_u32 v7, s1, v5
	v_mad_u64_u32 v[1:2], s[0:1], s0, v5, v[1:2]
	v_mul_lo_u32 v4, s28, v4
	v_mul_lo_u32 v8, s29, v5
	v_mad_u64_u32 v[12:13], s[0:1], s28, v5, v[12:13]
	s_add_u32 s26, s26, 1
	s_addc_u32 s27, s27, 0
	s_add_u32 s6, s6, 8
	v_add3_u32 v13, v8, v13, v4
	s_addc_u32 s7, s7, 0
	v_mov_b32_e32 v4, s14
	s_add_u32 s22, s22, 8
	v_mov_b32_e32 v5, s15
	s_addc_u32 s23, s23, 0
	v_cmp_ge_u64_e32 vcc, s[26:27], v[4:5]
	s_add_u32 s24, s24, 8
	v_add3_u32 v2, v7, v2, v6
	s_addc_u32 s25, s25, 0
	s_cbranch_vccnz .LBB0_9
; %bb.7:                                ;   in Loop: Header=BB0_2 Depth=1
	v_mov_b32_e32 v5, v14
	v_mov_b32_e32 v6, v15
	s_branch .LBB0_2
.LBB0_8:
	v_mov_b32_e32 v13, v2
	v_mov_b32_e32 v15, v6
	;; [unrolled: 1-line block ×4, first 2 shown]
.LBB0_9:
	s_load_dwordx2 s[0:1], s[4:5], 0x28
	s_mov_b32 s4, 0x1bdd2b9
	v_mul_hi_u32 v3, v0, s4
	s_lshl_b64 s[22:23], s[14:15], 3
	s_movk_i32 s4, 0x69
	s_waitcnt lgkmcnt(0)
	v_cmp_gt_u64_e64 s[0:1], s[0:1], v[14:15]
	v_mul_u32_u24_e32 v3, 0x93, v3
	v_sub_u32_e32 v22, v0, v3
	s_add_u32 s6, s18, s22
	v_cmp_gt_u32_e32 vcc, s4, v22
	s_addc_u32 s7, s19, s23
	s_and_b64 s[4:5], s[0:1], vcc
	v_mov_b32_e32 v4, 0
	v_mov_b32_e32 v3, 0
	;; [unrolled: 1-line block ×8, first 2 shown]
                                        ; implicit-def: $vgpr21
                                        ; implicit-def: $vgpr19
                                        ; implicit-def: $vgpr10
	s_and_saveexec_b64 s[14:15], s[4:5]
	s_cbranch_execz .LBB0_11
; %bb.10:
	s_add_u32 s0, s16, s22
	s_addc_u32 s1, s17, s23
	s_load_dwordx2 s[0:1], s[0:1], 0x0
	v_mad_u64_u32 v[3:4], s[16:17], s20, v22, 0
	v_mov_b32_e32 v0, v4
	s_waitcnt lgkmcnt(0)
	v_mul_lo_u32 v9, s1, v14
	v_mul_lo_u32 v10, s0, v15
	v_mad_u64_u32 v[5:6], s[0:1], s0, v14, 0
	v_mad_u64_u32 v[7:8], s[0:1], s21, v22, v[0:1]
	v_add3_u32 v6, v6, v10, v9
	v_lshlrev_b64 v[5:6], 3, v[5:6]
	v_mov_b32_e32 v4, v7
	v_mov_b32_e32 v0, s9
	v_add_co_u32_e64 v7, s[0:1], s8, v5
	v_add_u32_e32 v9, 0x69, v22
	v_addc_co_u32_e64 v8, s[0:1], v0, v6, s[0:1]
	v_mad_u64_u32 v[5:6], s[0:1], s20, v9, 0
	v_lshlrev_b64 v[0:1], 3, v[1:2]
	v_add_u32_e32 v10, 0x13b, v22
	v_add_co_u32_e64 v11, s[0:1], v7, v0
	v_mov_b32_e32 v2, v6
	v_addc_co_u32_e64 v29, s[0:1], v8, v1, s[0:1]
	v_lshlrev_b64 v[0:1], 3, v[3:4]
	v_mad_u64_u32 v[2:3], s[0:1], s21, v9, v[2:3]
	v_add_u32_e32 v7, 0xd2, v22
	v_mad_u64_u32 v[3:4], s[0:1], s20, v7, 0
	v_add_co_u32_e64 v0, s[0:1], v11, v0
	v_mov_b32_e32 v6, v2
	v_mov_b32_e32 v2, v4
	v_addc_co_u32_e64 v1, s[0:1], v29, v1, s[0:1]
	v_mad_u64_u32 v[7:8], s[0:1], s21, v7, v[2:3]
	v_mad_u64_u32 v[8:9], s[0:1], s20, v10, 0
	v_lshlrev_b64 v[5:6], 3, v[5:6]
	v_mov_b32_e32 v4, v7
	v_add_co_u32_e64 v16, s[0:1], v11, v5
	v_lshlrev_b64 v[2:3], 3, v[3:4]
	v_mov_b32_e32 v4, v9
	v_addc_co_u32_e64 v17, s[0:1], v29, v6, s[0:1]
	v_mad_u64_u32 v[4:5], s[0:1], s21, v10, v[4:5]
	v_add_u32_e32 v7, 0x1a4, v22
	v_mad_u64_u32 v[5:6], s[0:1], s20, v7, 0
	v_add_co_u32_e64 v18, s[0:1], v11, v2
	v_mov_b32_e32 v9, v4
	v_mov_b32_e32 v4, v6
	v_addc_co_u32_e64 v19, s[0:1], v29, v3, s[0:1]
	v_lshlrev_b64 v[2:3], 3, v[8:9]
	v_mad_u64_u32 v[6:7], s[0:1], s21, v7, v[4:5]
	v_add_u32_e32 v9, 0x20d, v22
	v_mad_u64_u32 v[7:8], s[0:1], s20, v9, 0
	v_add_co_u32_e64 v20, s[0:1], v11, v2
	v_mov_b32_e32 v4, v8
	v_addc_co_u32_e64 v21, s[0:1], v29, v3, s[0:1]
	v_lshlrev_b64 v[2:3], 3, v[5:6]
	v_mad_u64_u32 v[4:5], s[0:1], s21, v9, v[4:5]
	v_add_u32_e32 v5, 0x276, v22
	v_mad_u64_u32 v[23:24], s[0:1], s20, v5, 0
	v_add_co_u32_e64 v25, s[0:1], v11, v2
	v_mov_b32_e32 v8, v4
	v_mov_b32_e32 v4, v24
	v_addc_co_u32_e64 v26, s[0:1], v29, v3, s[0:1]
	v_mad_u64_u32 v[4:5], s[0:1], s21, v5, v[4:5]
	v_lshlrev_b64 v[2:3], 3, v[7:8]
	v_add_co_u32_e64 v27, s[0:1], v11, v2
	v_mov_b32_e32 v24, v4
	v_addc_co_u32_e64 v28, s[0:1], v29, v3, s[0:1]
	global_load_dwordx2 v[3:4], v[0:1], off
	global_load_dwordx2 v[7:8], v[16:17], off
	;; [unrolled: 1-line block ×4, first 2 shown]
	v_lshlrev_b64 v[0:1], 3, v[23:24]
	v_add_co_u32_e64 v0, s[0:1], v11, v0
	v_addc_co_u32_e64 v1, s[0:1], v29, v1, s[0:1]
	global_load_dwordx2 v[16:17], v[25:26], off
	global_load_dwordx2 v[18:19], v[27:28], off
	;; [unrolled: 1-line block ×3, first 2 shown]
.LBB0_11:
	s_or_b64 exec, exec, s[14:15]
	s_waitcnt vmcnt(0)
	v_add_f32_e32 v0, v7, v20
	v_add_f32_e32 v1, v8, v21
	v_sub_f32_e32 v2, v7, v20
	v_sub_f32_e32 v7, v8, v21
	v_add_f32_e32 v8, v5, v18
	v_add_f32_e32 v11, v6, v19
	v_sub_f32_e32 v5, v5, v18
	v_add_f32_e32 v18, v16, v9
	v_sub_f32_e32 v9, v16, v9
	;; [unrolled: 2-line block ×4, first 2 shown]
	v_add_f32_e32 v17, v1, v11
	v_add_f32_e32 v16, v16, v18
	v_sub_f32_e32 v20, v8, v0
	v_sub_f32_e32 v0, v0, v18
	v_sub_f32_e32 v8, v18, v8
	v_add_f32_e32 v23, v5, v9
	v_sub_f32_e32 v18, v9, v5
	v_add_f32_e32 v17, v17, v19
	v_sub_f32_e32 v25, v5, v2
	;; [unrolled: 2-line block ×3, first 2 shown]
	v_sub_f32_e32 v1, v1, v19
	v_sub_f32_e32 v11, v19, v11
	v_add_f32_e32 v24, v6, v10
	v_sub_f32_e32 v19, v10, v6
	v_sub_f32_e32 v26, v6, v7
	v_add_f32_e32 v6, v4, v17
	v_mov_b32_e32 v27, v5
	v_sub_f32_e32 v9, v2, v9
	v_add_f32_e32 v2, v2, v23
	v_add_f32_e32 v23, v7, v24
	v_mul_f32_e32 v8, 0x3d64c772, v8
	v_mul_f32_e32 v24, 0x3d64c772, v11
	v_fmac_f32_e32 v27, 0xbf955555, v16
	v_mov_b32_e32 v16, v6
	s_mov_b32 s0, 0x3f3bfb3b
	v_sub_f32_e32 v10, v7, v10
	v_mul_f32_e32 v3, 0x3f4a47b2, v0
	v_fmac_f32_e32 v16, 0xbf955555, v17
	v_fma_f32 v17, v20, s0, -v8
	v_fmac_f32_e32 v8, 0x3f4a47b2, v0
	v_fma_f32 v0, v21, s0, -v24
	v_mul_f32_e32 v4, 0x3f08b237, v18
	v_mul_f32_e32 v7, 0x3f08b237, v19
	s_mov_b32 s0, 0xbf5ff5aa
	v_fmac_f32_e32 v24, 0x3f4a47b2, v1
	v_mul_f32_e32 v1, 0x3f4a47b2, v1
	s_mov_b32 s1, 0xbf3bfb3b
	v_mul_f32_e32 v11, 0xbf5ff5aa, v25
	v_mul_f32_e32 v18, 0xbf5ff5aa, v26
	v_fma_f32 v25, v25, s0, -v4
	v_fma_f32 v26, v26, s0, -v7
	s_mov_b32 s0, 0x3eae86e6
	v_fma_f32 v3, v20, s1, -v3
	v_fma_f32 v1, v21, s1, -v1
	v_fmac_f32_e32 v4, 0xbeae86e6, v9
	v_fmac_f32_e32 v7, 0xbeae86e6, v10
	v_fma_f32 v11, v9, s0, -v11
	v_fma_f32 v18, v10, s0, -v18
	v_add_f32_e32 v10, v8, v27
	v_add_f32_e32 v19, v24, v16
	;; [unrolled: 1-line block ×6, first 2 shown]
	v_fmac_f32_e32 v4, 0xbee1c552, v2
	v_fmac_f32_e32 v7, 0xbee1c552, v23
	;; [unrolled: 1-line block ×6, first 2 shown]
	v_sub_f32_e32 v0, v8, v26
	v_add_f32_e32 v1, v9, v25
	v_add_f32_e32 v2, v26, v8
	v_sub_f32_e32 v3, v9, v25
	v_sub_f32_e32 v8, v20, v18
	v_add_f32_e32 v9, v21, v11
	v_sub_f32_e32 v16, v10, v7
	v_add_f32_e32 v17, v19, v4
	s_and_saveexec_b64 s[0:1], vcc
	s_cbranch_execz .LBB0_13
; %bb.12:
	v_sub_f32_e32 v21, v21, v11
	v_sub_f32_e32 v11, v19, v4
	v_mad_u32_u24 v4, v22, 56, 0
	v_add_f32_e32 v20, v18, v20
	v_add_f32_e32 v10, v7, v10
	ds_write_b64 v4, v[5:6]
	ds_write2_b64 v4, v[10:11], v[20:21] offset0:1 offset1:2
	ds_write2_b64 v4, v[0:1], v[2:3] offset0:3 offset1:4
	;; [unrolled: 1-line block ×3, first 2 shown]
.LBB0_13:
	s_or_b64 exec, exec, s[0:1]
	v_lshl_add_u32 v18, v22, 3, 0
	s_waitcnt lgkmcnt(0)
	s_barrier
	ds_read2_b64 v[4:7], v18 offset1:245
	ds_read_b64 v[10:11], v18 offset:3920
	s_movk_i32 s0, 0x62
	v_cmp_gt_u32_e64 s[0:1], s0, v22
	s_and_saveexec_b64 s[8:9], s[0:1]
	s_cbranch_execz .LBB0_15
; %bb.14:
	v_add_u32_e32 v0, 0x480, v18
	ds_read2_b64 v[0:3], v0 offset0:3 offset1:248
	ds_read_b64 v[8:9], v18 offset:5096
.LBB0_15:
	s_or_b64 exec, exec, s[8:9]
	v_mov_b32_e32 v21, 37
	v_mul_lo_u16_sdwa v19, v22, v21 dst_sel:DWORD dst_unused:UNUSED_PAD src0_sel:BYTE_0 src1_sel:DWORD
	v_sub_u16_sdwa v23, v22, v19 dst_sel:DWORD dst_unused:UNUSED_PAD src0_sel:DWORD src1_sel:BYTE_1
	v_lshrrev_b16_e32 v23, 1, v23
	v_add_u32_e32 v20, 0x93, v22
	v_and_b32_e32 v23, 0x7f, v23
	s_movk_i32 s8, 0x2493
	v_add_u16_sdwa v19, v23, v19 dst_sel:DWORD dst_unused:UNUSED_PAD src0_sel:DWORD src1_sel:BYTE_1
	v_mul_u32_u24_sdwa v23, v20, s8 dst_sel:DWORD dst_unused:UNUSED_PAD src0_sel:WORD_0 src1_sel:DWORD
	v_lshrrev_b16_e32 v24, 2, v19
	v_sub_u16_sdwa v26, v20, v23 dst_sel:DWORD dst_unused:UNUSED_PAD src0_sel:DWORD src1_sel:WORD_1
	v_mul_lo_u16_e32 v19, 7, v24
	v_lshrrev_b16_e32 v26, 1, v26
	v_sub_u16_e32 v25, v22, v19
	v_mov_b32_e32 v19, 4
	v_add_u16_sdwa v23, v26, v23 dst_sel:DWORD dst_unused:UNUSED_PAD src0_sel:DWORD src1_sel:WORD_1
	v_lshlrev_b32_sdwa v19, v19, v25 dst_sel:DWORD dst_unused:UNUSED_PAD src0_sel:DWORD src1_sel:BYTE_0
	v_lshrrev_b16_e32 v23, 2, v23
	global_load_dwordx4 v[26:29], v19, s[12:13]
	v_mul_lo_u16_e32 v19, 7, v23
	v_sub_u16_e32 v23, v20, v19
	v_lshlrev_b32_e32 v19, 4, v23
	global_load_dwordx4 v[30:33], v19, s[12:13]
	v_mov_b32_e32 v19, 3
	v_mul_u32_u24_e32 v24, 0xa8, v24
	v_lshlrev_b32_sdwa v25, v19, v25 dst_sel:DWORD dst_unused:UNUSED_PAD src0_sel:DWORD src1_sel:BYTE_0
	v_add3_u32 v34, 0, v24, v25
	s_load_dwordx2 s[6:7], s[6:7], 0x0
	s_waitcnt vmcnt(0) lgkmcnt(0)
	s_barrier
	v_mul_f32_e32 v35, v29, v11
	v_mul_f32_e32 v29, v29, v10
	;; [unrolled: 1-line block ×8, first 2 shown]
	v_fmac_f32_e32 v35, v28, v10
	v_fma_f32 v28, v28, v11, -v29
	v_fmac_f32_e32 v36, v26, v6
	v_fma_f32 v10, v26, v7, -v27
	v_fmac_f32_e32 v24, v8, v32
	v_fma_f32 v6, v9, v32, -v33
	v_fmac_f32_e32 v25, v2, v30
	v_fma_f32 v7, v3, v30, -v31
	v_add_f32_e32 v2, v36, v35
	v_add_f32_e32 v3, v10, v28
	;; [unrolled: 1-line block ×6, first 2 shown]
	v_sub_f32_e32 v30, v10, v28
	v_fma_f32 v10, -0.5, v2, v4
	v_fma_f32 v11, -0.5, v3, v5
	;; [unrolled: 1-line block ×4, first 2 shown]
	v_sub_f32_e32 v31, v36, v35
	v_sub_f32_e32 v8, v7, v6
	;; [unrolled: 1-line block ×3, first 2 shown]
	v_add_f32_e32 v27, v27, v28
	v_mov_b32_e32 v28, v10
	v_mov_b32_e32 v29, v11
	;; [unrolled: 1-line block ×4, first 2 shown]
	v_add_f32_e32 v26, v26, v35
	v_fmac_f32_e32 v28, 0xbf5db3d7, v30
	v_fmac_f32_e32 v29, 0x3f5db3d7, v31
	;; [unrolled: 1-line block ×6, first 2 shown]
	ds_write2_b64 v34, v[26:27], v[28:29] offset1:7
	ds_write_b64 v34, v[10:11] offset:112
	s_and_saveexec_b64 s[8:9], s[0:1]
	s_cbranch_execz .LBB0_17
; %bb.16:
	v_add_f32_e32 v1, v1, v7
	v_add_f32_e32 v1, v1, v6
	v_mul_lo_u16_sdwa v6, v20, v21 dst_sel:DWORD dst_unused:UNUSED_PAD src0_sel:BYTE_0 src1_sel:DWORD
	v_sub_u16_sdwa v7, v20, v6 dst_sel:DWORD dst_unused:UNUSED_PAD src0_sel:DWORD src1_sel:BYTE_1
	v_lshrrev_b16_e32 v7, 1, v7
	v_and_b32_e32 v7, 0x7f, v7
	v_add_u16_sdwa v6, v7, v6 dst_sel:DWORD dst_unused:UNUSED_PAD src0_sel:DWORD src1_sel:BYTE_1
	v_lshrrev_b16_e32 v6, 2, v6
	v_mul_f32_e32 v8, 0x3f5db3d7, v8
	v_mul_f32_e32 v9, 0x3f5db3d7, v9
	v_add_f32_e32 v0, v0, v25
	v_mul_u32_u24_e32 v6, 0xa8, v6
	v_lshlrev_b32_e32 v7, 3, v23
	v_add_f32_e32 v5, v9, v5
	v_sub_f32_e32 v4, v4, v8
	v_add_f32_e32 v0, v0, v24
	v_add3_u32 v6, 0, v6, v7
	ds_write2_b64 v6, v[0:1], v[4:5] offset1:7
	ds_write_b64 v6, v[2:3] offset:112
.LBB0_17:
	s_or_b64 exec, exec, s[8:9]
	s_movk_i32 s0, 0x87
	v_mul_lo_u16_sdwa v0, v22, s0 dst_sel:DWORD dst_unused:UNUSED_PAD src0_sel:BYTE_0 src1_sel:DWORD
	v_sub_u16_sdwa v1, v22, v0 dst_sel:DWORD dst_unused:UNUSED_PAD src0_sel:DWORD src1_sel:BYTE_1
	v_lshrrev_b16_e32 v1, 1, v1
	v_and_b32_e32 v1, 0x7f, v1
	v_add_u16_sdwa v0, v1, v0 dst_sel:DWORD dst_unused:UNUSED_PAD src0_sel:DWORD src1_sel:BYTE_1
	v_lshrrev_b16_e32 v0, 4, v0
	v_and_b32_e32 v35, 15, v0
	v_mul_lo_u16_e32 v0, 21, v35
	v_sub_u16_e32 v36, v22, v0
	v_mov_b32_e32 v0, 5
	v_lshlrev_b32_sdwa v0, v0, v36 dst_sel:DWORD dst_unused:UNUSED_PAD src0_sel:DWORD src1_sel:BYTE_0
	s_waitcnt lgkmcnt(0)
	s_barrier
	global_load_dwordx4 v[8:11], v0, s[12:13] offset:112
	global_load_dwordx4 v[23:26], v0, s[12:13] offset:128
	v_add_u32_e32 v21, 0x400, v18
	ds_read2_b64 v[27:30], v21 offset0:19 offset1:166
	v_add_u32_e32 v20, 0xc00, v18
	ds_read2_b32 v[6:7], v18 offset1:1
	ds_read2_b64 v[31:34], v20 offset0:57 offset1:204
	s_movk_i32 s0, 0x348
	v_lshlrev_b32_sdwa v19, v19, v36 dst_sel:DWORD dst_unused:UNUSED_PAD src0_sel:DWORD src1_sel:BYTE_0
	s_waitcnt vmcnt(0) lgkmcnt(0)
	s_barrier
	v_mul_f32_e32 v0, v9, v28
	v_mul_f32_e32 v1, v9, v27
	;; [unrolled: 1-line block ×5, first 2 shown]
	v_fmac_f32_e32 v0, v8, v27
	v_fma_f32 v1, v8, v28, -v1
	v_fmac_f32_e32 v4, v10, v29
	v_fma_f32 v5, v10, v30, -v5
	v_mul_f32_e32 v8, v24, v31
	v_mul_f32_e32 v24, v26, v34
	;; [unrolled: 1-line block ×3, first 2 shown]
	v_fmac_f32_e32 v9, v23, v31
	v_fma_f32 v8, v23, v32, -v8
	v_fmac_f32_e32 v24, v25, v33
	v_fma_f32 v23, v25, v34, -v10
	v_add_f32_e32 v10, v0, v6
	v_add_f32_e32 v11, v4, v9
	v_sub_f32_e32 v27, v0, v4
	v_sub_f32_e32 v28, v24, v9
	v_add_f32_e32 v29, v0, v24
	v_add_f32_e32 v32, v7, v1
	;; [unrolled: 1-line block ×4, first 2 shown]
	v_sub_f32_e32 v25, v1, v23
	v_sub_f32_e32 v26, v5, v8
	;; [unrolled: 1-line block ×7, first 2 shown]
	v_fma_f32 v0, -0.5, v11, v6
	v_sub_f32_e32 v11, v23, v8
	v_add_f32_e32 v27, v27, v28
	v_sub_f32_e32 v28, v5, v1
	v_add_f32_e32 v4, v10, v4
	v_sub_f32_e32 v10, v8, v23
	v_fma_f32 v6, -0.5, v29, v6
	v_add_f32_e32 v5, v32, v5
	v_fma_f32 v1, -0.5, v33, v7
	v_fmac_f32_e32 v7, -0.5, v39
	v_add_f32_e32 v29, v30, v31
	v_add_f32_e32 v30, v38, v11
	;; [unrolled: 1-line block ×4, first 2 shown]
	v_mov_b32_e32 v10, v0
	v_mov_b32_e32 v4, v6
	v_add_f32_e32 v31, v5, v8
	v_mov_b32_e32 v11, v1
	v_mov_b32_e32 v5, v7
	v_fmac_f32_e32 v0, 0x3f737871, v25
	v_fmac_f32_e32 v6, 0xbf737871, v26
	;; [unrolled: 1-line block ×8, first 2 shown]
	v_add_f32_e32 v8, v9, v24
	v_fmac_f32_e32 v0, 0x3f167918, v26
	v_fmac_f32_e32 v6, 0x3f167918, v25
	v_add_f32_e32 v9, v31, v23
	v_fmac_f32_e32 v1, 0xbf167918, v37
	v_fmac_f32_e32 v7, 0xbf167918, v34
	v_fmac_f32_e32 v10, 0xbf167918, v26
	v_fmac_f32_e32 v4, 0xbf167918, v25
	v_fmac_f32_e32 v11, 0x3f167918, v37
	v_fmac_f32_e32 v5, 0x3f167918, v34
	v_mul_u32_u24_sdwa v23, v35, s0 dst_sel:DWORD dst_unused:UNUSED_PAD src0_sel:WORD_0 src1_sel:DWORD
	v_fmac_f32_e32 v0, 0x3e9e377a, v27
	v_fmac_f32_e32 v6, 0x3e9e377a, v29
	;; [unrolled: 1-line block ×8, first 2 shown]
	v_add3_u32 v19, 0, v23, v19
	ds_write2_b64 v19, v[8:9], v[10:11] offset1:21
	ds_write2_b64 v19, v[4:5], v[6:7] offset0:42 offset1:63
	ds_write_b64 v19, v[0:1] offset:672
	s_waitcnt lgkmcnt(0)
	s_barrier
	s_and_saveexec_b64 s[0:1], vcc
	s_cbranch_execnz .LBB0_20
; %bb.18:
	s_or_b64 exec, exec, s[0:1]
	s_and_saveexec_b64 s[0:1], s[4:5]
	s_cbranch_execnz .LBB0_21
.LBB0_19:
	s_endpgm
.LBB0_20:
	ds_read2_b64 v[8:11], v18 offset1:105
	ds_read2_b64 v[4:7], v21 offset0:82 offset1:187
	ds_read2_b64 v[0:3], v20 offset0:36 offset1:141
	ds_read_b64 v[16:17], v18 offset:5040
	s_or_b64 exec, exec, s[0:1]
	s_and_saveexec_b64 s[0:1], s[4:5]
	s_cbranch_execz .LBB0_19
.LBB0_21:
	v_mul_u32_u24_e32 v18, 6, v22
	v_lshlrev_b32_e32 v31, 3, v18
	global_load_dwordx4 v[18:21], v31, s[12:13] offset:784
	global_load_dwordx4 v[23:26], v31, s[12:13] offset:816
	;; [unrolled: 1-line block ×3, first 2 shown]
	v_mul_lo_u32 v31, s7, v14
	v_mul_lo_u32 v32, s6, v15
	v_mad_u64_u32 v[14:15], s[0:1], s6, v14, 0
	s_mov_b32 s1, 0x3eae86e6
	s_mov_b32 s4, 0xbf3bfb3b
	v_add3_u32 v15, v15, v32, v31
	s_mov_b32 s0, 0xbf5ff5aa
	v_lshlrev_b64 v[14:15], 3, v[14:15]
	v_lshlrev_b64 v[12:13], 3, v[12:13]
	v_add_co_u32_e32 v14, vcc, s10, v14
	s_waitcnt vmcnt(2) lgkmcnt(3)
	v_mul_f32_e32 v31, v11, v19
	s_waitcnt vmcnt(1) lgkmcnt(0)
	v_mul_f32_e32 v32, v17, v26
	v_mul_f32_e32 v26, v16, v26
	v_fmac_f32_e32 v32, v16, v25
	v_fma_f32 v16, v17, v25, -v26
	v_mul_f32_e32 v17, v3, v24
	v_mul_f32_e32 v24, v2, v24
	s_waitcnt vmcnt(0)
	v_mul_f32_e32 v33, v1, v30
	v_fmac_f32_e32 v17, v2, v23
	v_fma_f32 v2, v3, v23, -v24
	v_mul_f32_e32 v24, v0, v30
	v_mul_f32_e32 v34, v7, v28
	;; [unrolled: 1-line block ×4, first 2 shown]
	v_fmac_f32_e32 v33, v0, v29
	v_fma_f32 v0, v1, v29, -v24
	v_mul_f32_e32 v1, v4, v21
	v_mul_f32_e32 v23, v6, v28
	v_fmac_f32_e32 v31, v10, v18
	v_fmac_f32_e32 v34, v6, v27
	;; [unrolled: 1-line block ×3, first 2 shown]
	v_fma_f32 v4, v11, v18, -v19
	v_fma_f32 v1, v5, v20, -v1
	;; [unrolled: 1-line block ×3, first 2 shown]
	v_sub_f32_e32 v7, v33, v34
	v_sub_f32_e32 v10, v3, v17
	v_add_f32_e32 v11, v4, v16
	v_add_f32_e32 v19, v1, v2
	;; [unrolled: 1-line block ×5, first 2 shown]
	v_sub_f32_e32 v5, v31, v32
	v_add_f32_e32 v18, v0, v6
	v_sub_f32_e32 v4, v4, v16
	v_sub_f32_e32 v0, v0, v6
	;; [unrolled: 1-line block ×3, first 2 shown]
	v_add_f32_e32 v2, v7, v10
	v_add_f32_e32 v23, v11, v19
	v_sub_f32_e32 v25, v21, v17
	v_add_f32_e32 v26, v20, v17
	v_sub_f32_e32 v16, v5, v7
	v_sub_f32_e32 v1, v7, v10
	;; [unrolled: 1-line block ×6, first 2 shown]
	v_add_f32_e32 v0, v0, v6
	v_add_f32_e32 v30, v5, v2
	;; [unrolled: 1-line block ×3, first 2 shown]
	v_mul_f32_e32 v23, 0x3d64c772, v25
	v_add_f32_e32 v21, v21, v26
	v_mul_f32_e32 v29, 0x3f08b237, v1
	v_mul_f32_e32 v7, 0x3d64c772, v7
	v_add_f32_e32 v26, v4, v0
	v_add_f32_e32 v1, v9, v2
	v_mov_b32_e32 v9, v23
	v_add_f32_e32 v0, v8, v21
	v_sub_f32_e32 v3, v11, v18
	v_sub_f32_e32 v10, v10, v5
	v_mul_f32_e32 v18, 0x3f4a47b2, v24
	v_mul_f32_e32 v25, 0x3f08b237, v28
	v_mov_b32_e32 v32, v7
	v_mov_b32_e32 v8, v1
	v_fmac_f32_e32 v9, 0x3f4a47b2, v24
	v_mov_b32_e32 v24, v0
	v_sub_f32_e32 v6, v6, v4
	v_mul_f32_e32 v28, 0xbf5ff5aa, v10
	v_mov_b32_e32 v31, v29
	v_mov_b32_e32 v33, v25
	v_fmac_f32_e32 v32, 0x3f4a47b2, v3
	v_fmac_f32_e32 v8, 0xbf955555, v2
	;; [unrolled: 1-line block ×3, first 2 shown]
	v_mul_f32_e32 v4, 0xbf5ff5aa, v6
	v_mul_f32_e32 v5, 0x3f4a47b2, v3
	v_fmac_f32_e32 v31, 0xbeae86e6, v16
	v_fmac_f32_e32 v33, 0xbeae86e6, v27
	v_add_f32_e32 v21, v32, v8
	v_add_f32_e32 v32, v9, v24
	v_fma_f32 v16, v16, s1, -v28
	v_sub_f32_e32 v9, v19, v11
	v_sub_f32_e32 v11, v17, v20
	v_fma_f32 v27, v27, s1, -v4
	s_mov_b32 s1, 0x3f3bfb3b
	v_fma_f32 v5, v9, s4, -v5
	v_fma_f32 v17, v11, s4, -v18
	;; [unrolled: 1-line block ×3, first 2 shown]
	v_add_f32_e32 v19, v5, v8
	v_add_f32_e32 v20, v17, v24
	;; [unrolled: 1-line block ×3, first 2 shown]
	v_fma_f32 v10, v10, s0, -v29
	v_fma_f32 v18, v6, s0, -v25
	;; [unrolled: 1-line block ×3, first 2 shown]
	v_mad_u64_u32 v[8:9], s[0:1], s2, v22, 0
	v_fmac_f32_e32 v10, 0xbee1c552, v30
	v_fmac_f32_e32 v18, 0xbee1c552, v26
	v_add_f32_e32 v23, v6, v24
	v_fmac_f32_e32 v16, 0xbee1c552, v30
	v_sub_f32_e32 v7, v17, v10
	v_add_f32_e32 v11, v10, v17
	v_sub_f32_e32 v10, v23, v18
	v_add_f32_e32 v5, v16, v19
	v_add_f32_e32 v6, v18, v23
	v_sub_f32_e32 v17, v19, v16
	v_mad_u64_u32 v[18:19], s[0:1], s3, v22, v[9:10]
	v_fmac_f32_e32 v31, 0xbee1c552, v30
	v_fmac_f32_e32 v27, 0xbee1c552, v26
	v_mov_b32_e32 v9, v18
	v_mov_b32_e32 v18, s11
	v_addc_co_u32_e32 v15, vcc, v18, v15, vcc
	v_add_co_u32_e32 v18, vcc, v14, v12
	v_add_u32_e32 v14, 0x69, v22
	v_add_f32_e32 v3, v31, v21
	v_sub_f32_e32 v4, v20, v27
	v_add_f32_e32 v16, v27, v20
	v_sub_f32_e32 v20, v21, v31
	v_addc_co_u32_e32 v21, vcc, v15, v13, vcc
	v_mad_u64_u32 v[12:13], s[0:1], s2, v14, 0
	v_add_u32_e32 v23, 0xd2, v22
	v_lshlrev_b64 v[8:9], 3, v[8:9]
	v_mad_u64_u32 v[13:14], s[0:1], s3, v14, v[13:14]
	v_mad_u64_u32 v[14:15], s[0:1], s2, v23, 0
	v_add_co_u32_e32 v8, vcc, v18, v8
	v_addc_co_u32_e32 v9, vcc, v21, v9, vcc
	global_store_dwordx2 v[8:9], v[0:1], off
	v_mov_b32_e32 v8, v15
	v_mad_u64_u32 v[8:9], s[0:1], s3, v23, v[8:9]
	v_lshlrev_b64 v[0:1], 3, v[12:13]
	v_add_u32_e32 v12, 0x13b, v22
	v_mov_b32_e32 v15, v8
	v_mad_u64_u32 v[8:9], s[0:1], s2, v12, 0
	v_fmac_f32_e32 v33, 0xbee1c552, v26
	v_add_co_u32_e32 v0, vcc, v18, v0
	v_add_f32_e32 v19, v33, v32
	v_addc_co_u32_e32 v1, vcc, v21, v1, vcc
	global_store_dwordx2 v[0:1], v[19:20], off
	v_lshlrev_b64 v[0:1], 3, v[14:15]
	v_mad_u64_u32 v[12:13], s[0:1], s3, v12, v[9:10]
	v_add_u32_e32 v15, 0x1a4, v22
	v_mad_u64_u32 v[13:14], s[0:1], s2, v15, 0
	v_add_co_u32_e32 v0, vcc, v18, v0
	v_addc_co_u32_e32 v1, vcc, v21, v1, vcc
	v_mov_b32_e32 v9, v12
	global_store_dwordx2 v[0:1], v[16:17], off
	v_lshlrev_b64 v[0:1], 3, v[8:9]
	v_mov_b32_e32 v8, v14
	v_mad_u64_u32 v[8:9], s[0:1], s3, v15, v[8:9]
	v_add_co_u32_e32 v0, vcc, v18, v0
	v_addc_co_u32_e32 v1, vcc, v21, v1, vcc
	global_store_dwordx2 v[0:1], v[10:11], off
	v_add_u32_e32 v10, 0x20d, v22
	v_mov_b32_e32 v14, v8
	v_mad_u64_u32 v[8:9], s[0:1], s2, v10, 0
	v_add_u32_e32 v12, 0x276, v22
	v_lshlrev_b64 v[0:1], 3, v[13:14]
	v_mad_u64_u32 v[9:10], s[0:1], s3, v10, v[9:10]
	v_mad_u64_u32 v[10:11], s[0:1], s2, v12, 0
	v_add_co_u32_e32 v0, vcc, v18, v0
	v_addc_co_u32_e32 v1, vcc, v21, v1, vcc
	global_store_dwordx2 v[0:1], v[6:7], off
	v_mov_b32_e32 v6, v11
	v_mad_u64_u32 v[6:7], s[0:1], s3, v12, v[6:7]
	v_lshlrev_b64 v[0:1], 3, v[8:9]
	v_sub_f32_e32 v2, v32, v33
	v_add_co_u32_e32 v0, vcc, v18, v0
	v_addc_co_u32_e32 v1, vcc, v21, v1, vcc
	v_mov_b32_e32 v11, v6
	global_store_dwordx2 v[0:1], v[4:5], off
	v_lshlrev_b64 v[0:1], 3, v[10:11]
	v_add_co_u32_e32 v0, vcc, v18, v0
	v_addc_co_u32_e32 v1, vcc, v21, v1, vcc
	global_store_dwordx2 v[0:1], v[2:3], off
	s_endpgm
	.section	.rodata,"a",@progbits
	.p2align	6, 0x0
	.amdhsa_kernel fft_rtc_back_len735_factors_7_3_5_7_wgs_147_tpt_147_sp_op_CI_CI_sbrr_dirReg
		.amdhsa_group_segment_fixed_size 0
		.amdhsa_private_segment_fixed_size 0
		.amdhsa_kernarg_size 104
		.amdhsa_user_sgpr_count 6
		.amdhsa_user_sgpr_private_segment_buffer 1
		.amdhsa_user_sgpr_dispatch_ptr 0
		.amdhsa_user_sgpr_queue_ptr 0
		.amdhsa_user_sgpr_kernarg_segment_ptr 1
		.amdhsa_user_sgpr_dispatch_id 0
		.amdhsa_user_sgpr_flat_scratch_init 0
		.amdhsa_user_sgpr_private_segment_size 0
		.amdhsa_uses_dynamic_stack 0
		.amdhsa_system_sgpr_private_segment_wavefront_offset 0
		.amdhsa_system_sgpr_workgroup_id_x 1
		.amdhsa_system_sgpr_workgroup_id_y 0
		.amdhsa_system_sgpr_workgroup_id_z 0
		.amdhsa_system_sgpr_workgroup_info 0
		.amdhsa_system_vgpr_workitem_id 0
		.amdhsa_next_free_vgpr 40
		.amdhsa_next_free_sgpr 32
		.amdhsa_reserve_vcc 1
		.amdhsa_reserve_flat_scratch 0
		.amdhsa_float_round_mode_32 0
		.amdhsa_float_round_mode_16_64 0
		.amdhsa_float_denorm_mode_32 3
		.amdhsa_float_denorm_mode_16_64 3
		.amdhsa_dx10_clamp 1
		.amdhsa_ieee_mode 1
		.amdhsa_fp16_overflow 0
		.amdhsa_exception_fp_ieee_invalid_op 0
		.amdhsa_exception_fp_denorm_src 0
		.amdhsa_exception_fp_ieee_div_zero 0
		.amdhsa_exception_fp_ieee_overflow 0
		.amdhsa_exception_fp_ieee_underflow 0
		.amdhsa_exception_fp_ieee_inexact 0
		.amdhsa_exception_int_div_zero 0
	.end_amdhsa_kernel
	.text
.Lfunc_end0:
	.size	fft_rtc_back_len735_factors_7_3_5_7_wgs_147_tpt_147_sp_op_CI_CI_sbrr_dirReg, .Lfunc_end0-fft_rtc_back_len735_factors_7_3_5_7_wgs_147_tpt_147_sp_op_CI_CI_sbrr_dirReg
                                        ; -- End function
	.section	.AMDGPU.csdata,"",@progbits
; Kernel info:
; codeLenInByte = 4692
; NumSgprs: 36
; NumVgprs: 40
; ScratchSize: 0
; MemoryBound: 0
; FloatMode: 240
; IeeeMode: 1
; LDSByteSize: 0 bytes/workgroup (compile time only)
; SGPRBlocks: 4
; VGPRBlocks: 9
; NumSGPRsForWavesPerEU: 36
; NumVGPRsForWavesPerEU: 40
; Occupancy: 6
; WaveLimiterHint : 1
; COMPUTE_PGM_RSRC2:SCRATCH_EN: 0
; COMPUTE_PGM_RSRC2:USER_SGPR: 6
; COMPUTE_PGM_RSRC2:TRAP_HANDLER: 0
; COMPUTE_PGM_RSRC2:TGID_X_EN: 1
; COMPUTE_PGM_RSRC2:TGID_Y_EN: 0
; COMPUTE_PGM_RSRC2:TGID_Z_EN: 0
; COMPUTE_PGM_RSRC2:TIDIG_COMP_CNT: 0
	.type	__hip_cuid_424cb519aefd467f,@object ; @__hip_cuid_424cb519aefd467f
	.section	.bss,"aw",@nobits
	.globl	__hip_cuid_424cb519aefd467f
__hip_cuid_424cb519aefd467f:
	.byte	0                               ; 0x0
	.size	__hip_cuid_424cb519aefd467f, 1

	.ident	"AMD clang version 19.0.0git (https://github.com/RadeonOpenCompute/llvm-project roc-6.4.0 25133 c7fe45cf4b819c5991fe208aaa96edf142730f1d)"
	.section	".note.GNU-stack","",@progbits
	.addrsig
	.addrsig_sym __hip_cuid_424cb519aefd467f
	.amdgpu_metadata
---
amdhsa.kernels:
  - .args:
      - .actual_access:  read_only
        .address_space:  global
        .offset:         0
        .size:           8
        .value_kind:     global_buffer
      - .offset:         8
        .size:           8
        .value_kind:     by_value
      - .actual_access:  read_only
        .address_space:  global
        .offset:         16
        .size:           8
        .value_kind:     global_buffer
      - .actual_access:  read_only
        .address_space:  global
        .offset:         24
        .size:           8
        .value_kind:     global_buffer
      - .actual_access:  read_only
        .address_space:  global
        .offset:         32
        .size:           8
        .value_kind:     global_buffer
      - .offset:         40
        .size:           8
        .value_kind:     by_value
      - .actual_access:  read_only
        .address_space:  global
        .offset:         48
        .size:           8
        .value_kind:     global_buffer
      - .actual_access:  read_only
        .address_space:  global
        .offset:         56
        .size:           8
        .value_kind:     global_buffer
      - .offset:         64
        .size:           4
        .value_kind:     by_value
      - .actual_access:  read_only
        .address_space:  global
        .offset:         72
        .size:           8
        .value_kind:     global_buffer
      - .actual_access:  read_only
        .address_space:  global
        .offset:         80
        .size:           8
        .value_kind:     global_buffer
      - .actual_access:  read_only
        .address_space:  global
        .offset:         88
        .size:           8
        .value_kind:     global_buffer
      - .actual_access:  write_only
        .address_space:  global
        .offset:         96
        .size:           8
        .value_kind:     global_buffer
    .group_segment_fixed_size: 0
    .kernarg_segment_align: 8
    .kernarg_segment_size: 104
    .language:       OpenCL C
    .language_version:
      - 2
      - 0
    .max_flat_workgroup_size: 147
    .name:           fft_rtc_back_len735_factors_7_3_5_7_wgs_147_tpt_147_sp_op_CI_CI_sbrr_dirReg
    .private_segment_fixed_size: 0
    .sgpr_count:     36
    .sgpr_spill_count: 0
    .symbol:         fft_rtc_back_len735_factors_7_3_5_7_wgs_147_tpt_147_sp_op_CI_CI_sbrr_dirReg.kd
    .uniform_work_group_size: 1
    .uses_dynamic_stack: false
    .vgpr_count:     40
    .vgpr_spill_count: 0
    .wavefront_size: 64
amdhsa.target:   amdgcn-amd-amdhsa--gfx906
amdhsa.version:
  - 1
  - 2
...

	.end_amdgpu_metadata
